;; amdgpu-corpus repo=ROCm/rocFFT kind=compiled arch=gfx1030 opt=O3
	.text
	.amdgcn_target "amdgcn-amd-amdhsa--gfx1030"
	.amdhsa_code_object_version 6
	.protected	fft_rtc_fwd_len120_factors_6_10_2_wgs_60_tpt_12_halfLds_half_ip_CI_unitstride_sbrr_dirReg ; -- Begin function fft_rtc_fwd_len120_factors_6_10_2_wgs_60_tpt_12_halfLds_half_ip_CI_unitstride_sbrr_dirReg
	.globl	fft_rtc_fwd_len120_factors_6_10_2_wgs_60_tpt_12_halfLds_half_ip_CI_unitstride_sbrr_dirReg
	.p2align	8
	.type	fft_rtc_fwd_len120_factors_6_10_2_wgs_60_tpt_12_halfLds_half_ip_CI_unitstride_sbrr_dirReg,@function
fft_rtc_fwd_len120_factors_6_10_2_wgs_60_tpt_12_halfLds_half_ip_CI_unitstride_sbrr_dirReg: ; @fft_rtc_fwd_len120_factors_6_10_2_wgs_60_tpt_12_halfLds_half_ip_CI_unitstride_sbrr_dirReg
; %bb.0:
	s_load_dwordx4 s[8:11], s[4:5], 0x0
	v_mul_u32_u24_e32 v1, 0x1556, v0
	s_clause 0x1
	s_load_dwordx2 s[2:3], s[4:5], 0x50
	s_load_dwordx2 s[12:13], s[4:5], 0x18
	v_lshrrev_b32_e32 v2, 16, v1
	v_mov_b32_e32 v1, 0
	v_mad_u64_u32 v[5:6], null, s6, 5, v[2:3]
	v_mov_b32_e32 v6, v1
	v_mov_b32_e32 v3, 0
	;; [unrolled: 1-line block ×5, first 2 shown]
	s_waitcnt lgkmcnt(0)
	v_cmp_lt_u64_e64 s0, s[10:11], 2
	s_and_b32 vcc_lo, exec_lo, s0
	s_cbranch_vccnz .LBB0_8
; %bb.1:
	s_load_dwordx2 s[0:1], s[4:5], 0x10
	v_mov_b32_e32 v3, 0
	v_mov_b32_e32 v7, v6
	s_add_u32 s6, s12, 8
	v_mov_b32_e32 v4, 0
	v_mov_b32_e32 v6, v5
	s_addc_u32 s7, s13, 0
	s_mov_b64 s[16:17], 1
	s_waitcnt lgkmcnt(0)
	s_add_u32 s14, s0, 8
	s_addc_u32 s15, s1, 0
.LBB0_2:                                ; =>This Inner Loop Header: Depth=1
	s_load_dwordx2 s[18:19], s[14:15], 0x0
                                        ; implicit-def: $vgpr8_vgpr9
	s_mov_b32 s0, exec_lo
	s_waitcnt lgkmcnt(0)
	v_or_b32_e32 v2, s19, v7
	v_cmpx_ne_u64_e32 0, v[1:2]
	s_xor_b32 s1, exec_lo, s0
	s_cbranch_execz .LBB0_4
; %bb.3:                                ;   in Loop: Header=BB0_2 Depth=1
	v_cvt_f32_u32_e32 v2, s18
	v_cvt_f32_u32_e32 v8, s19
	s_sub_u32 s0, 0, s18
	s_subb_u32 s20, 0, s19
	v_fmac_f32_e32 v2, 0x4f800000, v8
	v_rcp_f32_e32 v2, v2
	v_mul_f32_e32 v2, 0x5f7ffffc, v2
	v_mul_f32_e32 v8, 0x2f800000, v2
	v_trunc_f32_e32 v8, v8
	v_fmac_f32_e32 v2, 0xcf800000, v8
	v_cvt_u32_f32_e32 v8, v8
	v_cvt_u32_f32_e32 v2, v2
	v_mul_lo_u32 v9, s0, v8
	v_mul_hi_u32 v10, s0, v2
	v_mul_lo_u32 v11, s20, v2
	v_add_nc_u32_e32 v9, v10, v9
	v_mul_lo_u32 v10, s0, v2
	v_add_nc_u32_e32 v9, v9, v11
	v_mul_hi_u32 v11, v2, v10
	v_mul_lo_u32 v12, v2, v9
	v_mul_hi_u32 v13, v2, v9
	v_mul_hi_u32 v14, v8, v10
	v_mul_lo_u32 v10, v8, v10
	v_mul_hi_u32 v15, v8, v9
	v_mul_lo_u32 v9, v8, v9
	v_add_co_u32 v11, vcc_lo, v11, v12
	v_add_co_ci_u32_e32 v12, vcc_lo, 0, v13, vcc_lo
	v_add_co_u32 v10, vcc_lo, v11, v10
	v_add_co_ci_u32_e32 v10, vcc_lo, v12, v14, vcc_lo
	v_add_co_ci_u32_e32 v11, vcc_lo, 0, v15, vcc_lo
	v_add_co_u32 v9, vcc_lo, v10, v9
	v_add_co_ci_u32_e32 v10, vcc_lo, 0, v11, vcc_lo
	v_add_co_u32 v2, vcc_lo, v2, v9
	v_add_co_ci_u32_e32 v8, vcc_lo, v8, v10, vcc_lo
	v_mul_hi_u32 v9, s0, v2
	v_mul_lo_u32 v11, s20, v2
	v_mul_lo_u32 v10, s0, v8
	v_add_nc_u32_e32 v9, v9, v10
	v_mul_lo_u32 v10, s0, v2
	v_add_nc_u32_e32 v9, v9, v11
	v_mul_hi_u32 v11, v2, v10
	v_mul_lo_u32 v12, v2, v9
	v_mul_hi_u32 v13, v2, v9
	v_mul_hi_u32 v14, v8, v10
	v_mul_lo_u32 v10, v8, v10
	v_mul_hi_u32 v15, v8, v9
	v_mul_lo_u32 v9, v8, v9
	v_add_co_u32 v11, vcc_lo, v11, v12
	v_add_co_ci_u32_e32 v12, vcc_lo, 0, v13, vcc_lo
	v_add_co_u32 v10, vcc_lo, v11, v10
	v_add_co_ci_u32_e32 v10, vcc_lo, v12, v14, vcc_lo
	v_add_co_ci_u32_e32 v11, vcc_lo, 0, v15, vcc_lo
	v_add_co_u32 v9, vcc_lo, v10, v9
	v_add_co_ci_u32_e32 v10, vcc_lo, 0, v11, vcc_lo
	v_add_co_u32 v2, vcc_lo, v2, v9
	v_add_co_ci_u32_e32 v12, vcc_lo, v8, v10, vcc_lo
	v_mul_hi_u32 v14, v6, v2
	v_mad_u64_u32 v[10:11], null, v7, v2, 0
	v_mad_u64_u32 v[8:9], null, v6, v12, 0
	v_mad_u64_u32 v[12:13], null, v7, v12, 0
	v_add_co_u32 v2, vcc_lo, v14, v8
	v_add_co_ci_u32_e32 v8, vcc_lo, 0, v9, vcc_lo
	v_add_co_u32 v2, vcc_lo, v2, v10
	v_add_co_ci_u32_e32 v2, vcc_lo, v8, v11, vcc_lo
	v_add_co_ci_u32_e32 v8, vcc_lo, 0, v13, vcc_lo
	v_add_co_u32 v2, vcc_lo, v2, v12
	v_add_co_ci_u32_e32 v10, vcc_lo, 0, v8, vcc_lo
	v_mul_lo_u32 v11, s19, v2
	v_mad_u64_u32 v[8:9], null, s18, v2, 0
	v_mul_lo_u32 v12, s18, v10
	v_sub_co_u32 v8, vcc_lo, v6, v8
	v_add3_u32 v9, v9, v12, v11
	v_sub_nc_u32_e32 v11, v7, v9
	v_subrev_co_ci_u32_e64 v11, s0, s19, v11, vcc_lo
	v_add_co_u32 v12, s0, v2, 2
	v_add_co_ci_u32_e64 v13, s0, 0, v10, s0
	v_sub_co_u32 v14, s0, v8, s18
	v_sub_co_ci_u32_e32 v9, vcc_lo, v7, v9, vcc_lo
	v_subrev_co_ci_u32_e64 v11, s0, 0, v11, s0
	v_cmp_le_u32_e32 vcc_lo, s18, v14
	v_cmp_eq_u32_e64 s0, s19, v9
	v_cndmask_b32_e64 v14, 0, -1, vcc_lo
	v_cmp_le_u32_e32 vcc_lo, s19, v11
	v_cndmask_b32_e64 v15, 0, -1, vcc_lo
	v_cmp_le_u32_e32 vcc_lo, s18, v8
	;; [unrolled: 2-line block ×3, first 2 shown]
	v_cndmask_b32_e64 v16, 0, -1, vcc_lo
	v_cmp_eq_u32_e32 vcc_lo, s19, v11
	v_cndmask_b32_e64 v8, v16, v8, s0
	v_cndmask_b32_e32 v11, v15, v14, vcc_lo
	v_add_co_u32 v14, vcc_lo, v2, 1
	v_add_co_ci_u32_e32 v15, vcc_lo, 0, v10, vcc_lo
	v_cmp_ne_u32_e32 vcc_lo, 0, v11
	v_cndmask_b32_e32 v9, v15, v13, vcc_lo
	v_cndmask_b32_e32 v11, v14, v12, vcc_lo
	v_cmp_ne_u32_e32 vcc_lo, 0, v8
	v_cndmask_b32_e32 v9, v10, v9, vcc_lo
	v_cndmask_b32_e32 v8, v2, v11, vcc_lo
.LBB0_4:                                ;   in Loop: Header=BB0_2 Depth=1
	s_andn2_saveexec_b32 s0, s1
	s_cbranch_execz .LBB0_6
; %bb.5:                                ;   in Loop: Header=BB0_2 Depth=1
	v_cvt_f32_u32_e32 v2, s18
	s_sub_i32 s1, 0, s18
	v_rcp_iflag_f32_e32 v2, v2
	v_mul_f32_e32 v2, 0x4f7ffffe, v2
	v_cvt_u32_f32_e32 v2, v2
	v_mul_lo_u32 v8, s1, v2
	v_mul_hi_u32 v8, v2, v8
	v_add_nc_u32_e32 v2, v2, v8
	v_mul_hi_u32 v2, v6, v2
	v_mul_lo_u32 v8, v2, s18
	v_add_nc_u32_e32 v9, 1, v2
	v_sub_nc_u32_e32 v8, v6, v8
	v_subrev_nc_u32_e32 v10, s18, v8
	v_cmp_le_u32_e32 vcc_lo, s18, v8
	v_cndmask_b32_e32 v8, v8, v10, vcc_lo
	v_cndmask_b32_e32 v2, v2, v9, vcc_lo
	v_cmp_le_u32_e32 vcc_lo, s18, v8
	v_add_nc_u32_e32 v9, 1, v2
	v_cndmask_b32_e32 v8, v2, v9, vcc_lo
	v_mov_b32_e32 v9, v1
.LBB0_6:                                ;   in Loop: Header=BB0_2 Depth=1
	s_or_b32 exec_lo, exec_lo, s0
	s_load_dwordx2 s[0:1], s[6:7], 0x0
	v_mul_lo_u32 v2, v9, s18
	v_mul_lo_u32 v12, v8, s19
	v_mad_u64_u32 v[10:11], null, v8, s18, 0
	s_add_u32 s16, s16, 1
	s_addc_u32 s17, s17, 0
	s_add_u32 s6, s6, 8
	s_addc_u32 s7, s7, 0
	;; [unrolled: 2-line block ×3, first 2 shown]
	v_add3_u32 v2, v11, v12, v2
	v_sub_co_u32 v6, vcc_lo, v6, v10
	v_sub_co_ci_u32_e32 v2, vcc_lo, v7, v2, vcc_lo
	s_waitcnt lgkmcnt(0)
	v_mul_lo_u32 v7, s1, v6
	v_mul_lo_u32 v2, s0, v2
	v_mad_u64_u32 v[3:4], null, s0, v6, v[3:4]
	v_cmp_ge_u64_e64 s0, s[16:17], s[10:11]
	s_and_b32 vcc_lo, exec_lo, s0
	v_add3_u32 v4, v7, v4, v2
	s_cbranch_vccnz .LBB0_8
; %bb.7:                                ;   in Loop: Header=BB0_2 Depth=1
	v_mov_b32_e32 v6, v8
	v_mov_b32_e32 v7, v9
	s_branch .LBB0_2
.LBB0_8:
	s_lshl_b64 s[0:1], s[10:11], 3
                                        ; implicit-def: $vgpr10
                                        ; implicit-def: $vgpr11
                                        ; implicit-def: $vgpr21
                                        ; implicit-def: $vgpr19
                                        ; implicit-def: $vgpr18
                                        ; implicit-def: $vgpr20
                                        ; implicit-def: $vgpr13
                                        ; implicit-def: $vgpr14
                                        ; implicit-def: $vgpr12
                                        ; implicit-def: $vgpr17
                                        ; implicit-def: $vgpr16
                                        ; implicit-def: $vgpr15
	s_add_u32 s0, s12, s0
	s_addc_u32 s1, s13, s1
	s_load_dwordx2 s[0:1], s[0:1], 0x0
	s_load_dwordx2 s[4:5], s[4:5], 0x20
	s_waitcnt lgkmcnt(0)
	v_mul_lo_u32 v6, s0, v9
	v_mul_lo_u32 v7, s1, v8
	v_mad_u64_u32 v[1:2], null, s0, v8, v[3:4]
	v_mul_hi_u32 v3, 0x15555556, v0
	v_cmp_gt_u64_e32 vcc_lo, s[4:5], v[8:9]
                                        ; implicit-def: $vgpr8
                                        ; implicit-def: $vgpr4
                                        ; implicit-def: $vgpr9
	v_add3_u32 v2, v7, v2, v6
                                        ; implicit-def: $vgpr6
                                        ; implicit-def: $vgpr7
	v_mul_u32_u24_e32 v3, 12, v3
	v_lshlrev_b64 v[1:2], 2, v[1:2]
	v_sub_nc_u32_e32 v3, v0, v3
                                        ; implicit-def: $vgpr0
	s_and_saveexec_b32 s1, vcc_lo
	s_cbranch_execz .LBB0_12
; %bb.9:
	v_mov_b32_e32 v4, 0
	v_add_co_u32 v0, s0, s2, v1
	s_mov_b32 s4, exec_lo
                                        ; implicit-def: $vgpr12
                                        ; implicit-def: $vgpr14
                                        ; implicit-def: $vgpr13
                                        ; implicit-def: $vgpr20
                                        ; implicit-def: $vgpr18
                                        ; implicit-def: $vgpr19
                                        ; implicit-def: $vgpr21
                                        ; implicit-def: $vgpr9
	v_lshlrev_b64 v[6:7], 2, v[3:4]
	v_add_co_ci_u32_e64 v4, s0, s3, v2, s0
	v_add_co_u32 v6, s0, v0, v6
	v_add_co_ci_u32_e64 v7, s0, v4, v7, s0
                                        ; implicit-def: $vgpr4
	s_clause 0x5
	global_load_dword v10, v[6:7], off
	global_load_dword v15, v[6:7], off offset:400
	global_load_dword v8, v[6:7], off offset:320
	;; [unrolled: 1-line block ×5, first 2 shown]
	v_cmpx_gt_u32_e32 8, v3
	s_cbranch_execz .LBB0_11
; %bb.10:
	s_clause 0x5
	global_load_dword v9, v[6:7], off offset:48
	global_load_dword v19, v[6:7], off offset:208
	global_load_dword v20, v[6:7], off offset:368
	global_load_dword v12, v[6:7], off offset:448
	global_load_dword v14, v[6:7], off offset:288
	global_load_dword v13, v[6:7], off offset:128
	s_waitcnt vmcnt(5)
	v_lshrrev_b32_e32 v4, 16, v9
	s_waitcnt vmcnt(4)
	v_lshrrev_b32_e32 v21, 16, v19
	;; [unrolled: 2-line block ×3, first 2 shown]
.LBB0_11:
	s_or_b32 exec_lo, exec_lo, s4
	s_waitcnt vmcnt(5)
	v_lshrrev_b32_e32 v6, 16, v10
	s_waitcnt vmcnt(1)
	v_lshrrev_b32_e32 v11, 16, v0
	v_lshrrev_b32_e32 v7, 16, v8
.LBB0_12:
	s_or_b32 exec_lo, exec_lo, s1
	v_mul_hi_u32 v22, 0xcccccccd, v5
	v_pk_add_f16 v23, v16, v15
	v_pk_add_f16 v24, v16, v15 neg_lo:[0,1] neg_hi:[0,1]
	v_add_f16_e32 v25, v10, v0
	v_add_f16_e32 v26, v0, v8
	v_sub_f16_e32 v27, v11, v7
	s_waitcnt vmcnt(0)
	v_pk_fma_f16 v23, v23, 0.5, v17 op_sel_hi:[1,0,1] neg_lo:[1,0,0] neg_hi:[1,0,0]
	v_pk_mul_f16 v24, 0x3aee, v24 op_sel_hi:[0,1]
	v_lshrrev_b32_e32 v22, 2, v22
	v_pk_add_f16 v17, v17, v16
	v_fmac_f16_e32 v10, -0.5, v26
	v_cmp_gt_u32_e64 s0, 8, v3
	v_pk_add_f16 v16, v24, v23 op_sel:[1,0] op_sel_hi:[0,1]
	v_pk_add_f16 v23, v23, v24 op_sel:[0,1] op_sel_hi:[1,0] neg_lo:[0,1] neg_hi:[0,1]
	v_lshl_add_u32 v22, v22, 2, v22
	v_add_f16_e32 v24, v25, v8
	v_pk_add_f16 v25, v17, v15
	v_mul_f16_e32 v26, 0.5, v16
	v_lshrrev_b32_e32 v28, 16, v23
	v_mul_f16_e32 v29, -0.5, v23
	v_sub_nc_u32_e32 v5, v5, v22
	v_lshrrev_b32_e32 v22, 16, v16
	v_fmamk_f16 v30, v27, 0x3aee, v10
	v_fmac_f16_e32 v10, 0xbaee, v27
	v_fmac_f16_e32 v26, 0x3aee, v28
	v_mul_u32_u24_e32 v15, 0x78, v5
	v_fmac_f16_e32 v29, 0x3aee, v22
	v_add_f16_e32 v17, v24, v25
	v_pk_add_f16 v5, v14, v12
	v_pk_add_f16 v22, v14, v12 neg_lo:[0,1] neg_hi:[0,1]
	v_sub_f16_e32 v31, v24, v25
	v_mul_u32_u24_e32 v24, 6, v3
	v_add_f16_e32 v27, v30, v26
	v_add_f16_e32 v28, v10, v29
	v_pk_add_f16 v14, v13, v14
	v_pk_fma_f16 v32, v5, 0.5, v13 op_sel_hi:[1,0,1] neg_lo:[1,0,0] neg_hi:[1,0,0]
	v_pk_mul_f16 v33, 0x3aee, v22 op_sel_hi:[0,1]
	v_lshl_add_u32 v13, v24, 1, 0
	v_sub_f16_e32 v30, v30, v26
	v_sub_f16_e32 v10, v10, v29
	v_pk_add_f16 v5, v14, v12
	v_pk_add_f16 v22, v32, v33 op_sel:[0,1] op_sel_hi:[1,0] neg_lo:[0,1] neg_hi:[0,1]
	v_pk_add_f16 v24, v33, v32 op_sel:[1,0] op_sel_hi:[0,1]
	v_lshl_add_u32 v26, v15, 1, v13
	v_pack_b32_f16 v12, v28, v31
	v_pack_b32_f16 v14, v17, v27
	;; [unrolled: 1-line block ×3, first 2 shown]
	ds_write2_b32 v26, v14, v12 offset1:1
	ds_write_b32 v26, v10 offset:8
	s_and_saveexec_b32 s1, s0
	s_cbranch_execz .LBB0_14
; %bb.13:
	v_add_f16_e32 v10, v19, v20
	v_sub_f16_e32 v12, v21, v18
	v_lshrrev_b32_e32 v14, 16, v24
	v_mul_f16_e32 v17, -0.5, v22
	v_add_f16_e32 v27, v9, v19
	v_fma_f16 v9, -0.5, v10, v9
	v_mul_f16_e32 v10, 0.5, v24
	v_lshrrev_b32_e32 v28, 16, v22
	v_fmac_f16_e32 v17, 0x3aee, v14
	v_add_f16_e32 v14, v27, v20
	v_fmamk_f16 v27, v12, 0xbaee, v9
	v_fmac_f16_e32 v9, 0x3aee, v12
	v_fmac_f16_e32 v10, 0x3aee, v28
	v_sub_f16_e32 v12, v14, v5
	v_sub_f16_e32 v28, v27, v17
	v_add_f16_e32 v17, v27, v17
	v_add_f16_e32 v27, v9, v10
	;; [unrolled: 1-line block ×3, first 2 shown]
	v_sub_f16_e32 v9, v9, v10
	v_pack_b32_f16 v10, v17, v12
	v_pack_b32_f16 v12, v14, v27
	;; [unrolled: 1-line block ×3, first 2 shown]
	ds_write2_b32 v26, v12, v10 offset0:36 offset1:37
	ds_write_b32 v26, v9 offset:152
.LBB0_14:
	s_or_b32 exec_lo, exec_lo, s1
	v_add_f16_e32 v9, v11, v7
	v_sub_f16_e32 v0, v0, v8
	v_add_f16_e32 v8, v6, v11
	v_lshlrev_b32_e32 v17, 1, v15
	v_mul_i32_i24_e32 v10, -10, v3
	v_fmac_f16_e32 v6, -0.5, v9
	v_mul_f16_e32 v0, 0x3aee, v0
	v_lshlrev_b32_e32 v9, 1, v3
	v_add_f16_e32 v27, v8, v7
	v_pk_mul_f16 v30, 0x38003aee, v16
	s_waitcnt lgkmcnt(0)
	v_pk_add_f16 v28, v6, v0 neg_lo:[0,1] neg_hi:[0,1]
	v_pk_add_f16 v29, v6, v0
	v_add3_u32 v0, 0, v17, v9
	v_add3_u32 v6, v13, v10, v17
	s_barrier
	buffer_gl0_inv
	ds_read_u16 v7, v0
	ds_read_u16 v16, v6 offset:24
	ds_read_u16 v15, v6 offset:48
	;; [unrolled: 1-line block ×9, first 2 shown]
	v_pack_b32_f16 v28, v29, v28
	v_pk_fma_f16 v23, 0x3800baee, v23, v30 op_sel:[0,0,1] op_sel_hi:[1,1,0] neg_lo:[0,0,1] neg_hi:[0,0,1]
	v_add_f16_sdwa v29, v27, v25 dst_sel:DWORD dst_unused:UNUSED_PAD src0_sel:DWORD src1_sel:WORD_1
	v_sub_f16_sdwa v25, v27, v25 dst_sel:DWORD dst_unused:UNUSED_PAD src0_sel:DWORD src1_sel:WORD_1
	s_waitcnt lgkmcnt(0)
	s_barrier
	v_pk_add_f16 v30, v28, v23
	v_pk_add_f16 v23, v28, v23 neg_lo:[0,1] neg_hi:[0,1]
	buffer_gl0_inv
	v_bfi_b32 v27, 0xffff, v29, v30
	v_pack_b32_f16 v25, v30, v25
	v_alignbit_b32 v23, v23, v23, 16
	ds_write2_b32 v26, v27, v25 offset1:1
	ds_write_b32 v26, v23 offset:8
	s_and_saveexec_b32 s1, s0
	s_cbranch_execz .LBB0_16
; %bb.15:
	v_add_f16_e32 v23, v21, v18
	v_sub_f16_e32 v19, v19, v20
	v_add_f16_e32 v20, v4, v21
	v_pk_mul_f16 v21, 0x38003aee, v24
	v_fmac_f16_e32 v4, -0.5, v23
	v_mul_f16_e32 v19, 0x3aee, v19
	v_add_nc_u32_e32 v23, 12, v3
	v_add_f16_e32 v18, v20, v18
	v_pk_add_f16 v24, v4, v19 neg_lo:[0,1] neg_hi:[0,1]
	v_pk_add_f16 v4, v4, v19
	v_pk_fma_f16 v19, 0x3800baee, v22, v21 op_sel:[0,0,1] op_sel_hi:[1,1,0] neg_lo:[0,0,1] neg_hi:[0,0,1]
	v_mul_u32_u24_e32 v20, 6, v23
	v_add_f16_sdwa v21, v5, v18 dst_sel:DWORD dst_unused:UNUSED_PAD src0_sel:WORD_1 src1_sel:DWORD
	v_sub_f16_sdwa v5, v18, v5 dst_sel:DWORD dst_unused:UNUSED_PAD src0_sel:DWORD src1_sel:WORD_1
	v_pack_b32_f16 v4, v4, v24
	v_lshlrev_b32_e32 v20, 1, v20
	v_pk_add_f16 v22, v4, v19
	v_pk_add_f16 v4, v4, v19 neg_lo:[0,1] neg_hi:[0,1]
	v_add3_u32 v18, 0, v20, v17
	v_bfi_b32 v19, 0xffff, v21, v22
	v_pack_b32_f16 v5, v22, v5
	v_alignbit_b32 v4, v4, v4, 16
	ds_write2_b32 v18, v19, v5 offset1:1
	ds_write_b32 v18, v4 offset:8
.LBB0_16:
	s_or_b32 exec_lo, exec_lo, s1
	v_add_nc_u32_e32 v4, -6, v3
	v_cmp_gt_u32_e64 s0, 6, v3
	v_mov_b32_e32 v5, 0
	s_waitcnt lgkmcnt(0)
	s_barrier
	buffer_gl0_inv
	v_cndmask_b32_e64 v28, v4, v3, s0
	v_mul_i32_i24_e32 v4, 9, v28
	v_lshlrev_b32_e32 v28, 1, v28
	v_lshlrev_b64 v[18:19], 2, v[4:5]
	v_add_co_u32 v26, s0, s8, v18
	v_add_co_ci_u32_e64 v27, s0, s9, v19, s0
	v_cmp_lt_u32_e64 s0, 5, v3
	s_clause 0x2
	global_load_dwordx4 v[18:21], v[26:27], off
	global_load_dwordx4 v[22:25], v[26:27], off offset:16
	global_load_dword v4, v[26:27], off offset:32
	ds_read_u16 v26, v6 offset:24
	ds_read_u16 v27, v6 offset:48
	;; [unrolled: 1-line block ×7, first 2 shown]
	ds_read_u16 v35, v0
	ds_read_u16 v36, v6 offset:192
	ds_read_u16 v37, v6 offset:216
	v_cndmask_b32_e64 v29, 0, 0x78, s0
	s_waitcnt vmcnt(0) lgkmcnt(0)
	s_barrier
	buffer_gl0_inv
	v_add_nc_u32_e32 v29, 0, v29
	v_add3_u32 v17, v29, v28, v17
	v_mul_f16_sdwa v38, v27, v19 dst_sel:DWORD dst_unused:UNUSED_PAD src0_sel:DWORD src1_sel:WORD_1
	v_mul_f16_sdwa v39, v15, v19 dst_sel:DWORD dst_unused:UNUSED_PAD src0_sel:DWORD src1_sel:WORD_1
	;; [unrolled: 1-line block ×18, first 2 shown]
	v_fma_f16 v15, v15, v19, -v38
	v_fmac_f16_e32 v39, v27, v19
	v_fma_f16 v13, v13, v21, -v42
	v_fmac_f16_e32 v43, v31, v21
	v_fmac_f16_e32 v45, v32, v22
	v_fma_f16 v11, v11, v23, -v46
	v_fmac_f16_e32 v47, v33, v23
	;; [unrolled: 3-line block ×3, first 2 shown]
	v_fmac_f16_e32 v41, v30, v20
	v_fmac_f16_e32 v53, v37, v4
	v_fma_f16 v14, v14, v20, -v40
	v_fma_f16 v12, v12, v22, -v44
	;; [unrolled: 1-line block ×5, first 2 shown]
	v_fmac_f16_e32 v29, v26, v18
	v_add_f16_e32 v4, v7, v15
	v_add_f16_e32 v18, v13, v11
	;; [unrolled: 1-line block ×7, first 2 shown]
	v_sub_f16_e32 v21, v15, v13
	v_sub_f16_e32 v22, v9, v11
	v_add_f16_e32 v26, v35, v39
	v_add_f16_e32 v37, v12, v10
	;; [unrolled: 1-line block ×4, first 2 shown]
	v_sub_f16_e32 v24, v13, v15
	v_sub_f16_e32 v28, v13, v11
	;; [unrolled: 1-line block ×6, first 2 shown]
	v_add_f16_e32 v4, v4, v13
	v_fma_f16 v13, -0.5, v18, v7
	v_fmac_f16_e32 v7, -0.5, v23
	v_fma_f16 v23, -0.5, v27, v35
	v_fmac_f16_e32 v35, -0.5, v32
	v_fma_f16 v32, -0.5, v52, v29
	v_sub_f16_e32 v25, v11, v9
	v_sub_f16_e32 v30, v39, v43
	;; [unrolled: 1-line block ×3, first 2 shown]
	v_add_f16_e32 v50, v29, v41
	v_sub_f16_e32 v54, v12, v10
	v_fmac_f16_e32 v29, -0.5, v57
	v_sub_f16_e32 v19, v39, v51
	v_sub_f16_e32 v33, v43, v39
	;; [unrolled: 1-line block ×8, first 2 shown]
	v_add_f16_e32 v18, v21, v22
	v_add_f16_e32 v22, v26, v43
	v_fma_f16 v26, -0.5, v37, v16
	v_fmac_f16_e32 v16, -0.5, v44
	v_add_f16_e32 v12, v36, v12
	v_sub_f16_e32 v56, v53, v49
	v_add_f16_e32 v27, v40, v42
	v_fmamk_f16 v42, v14, 0xbb9c, v32
	v_sub_f16_e32 v20, v43, v47
	v_add_f16_e32 v21, v24, v25
	v_add_f16_e32 v24, v30, v31
	;; [unrolled: 1-line block ×3, first 2 shown]
	v_fmamk_f16 v43, v54, 0x3b9c, v29
	v_sub_f16_e32 v48, v10, v8
	v_add_f16_e32 v25, v33, v34
	v_add_f16_e32 v34, v41, v58
	v_fmamk_f16 v41, v39, 0xbb9c, v16
	v_fmac_f16_e32 v16, 0x3b9c, v39
	v_add_f16_e32 v10, v12, v10
	v_fmamk_f16 v12, v38, 0x3b9c, v26
	v_fmac_f16_e32 v26, 0xbb9c, v38
	v_add_f16_e32 v33, v55, v56
	v_add_f16_e32 v4, v4, v11
	v_fmac_f16_e32 v42, 0xb8b4, v54
	v_fmamk_f16 v11, v19, 0x3b9c, v13
	v_fmac_f16_e32 v13, 0xbb9c, v19
	v_add_f16_e32 v22, v22, v47
	v_add_f16_e32 v31, v31, v49
	v_fmac_f16_e32 v43, 0xb8b4, v14
	v_add_f16_e32 v30, v46, v48
	v_fmac_f16_e32 v29, 0xbb9c, v54
	v_fmac_f16_e32 v16, 0xb8b4, v38
	;; [unrolled: 1-line block ×4, first 2 shown]
	v_add_f16_e32 v4, v4, v9
	v_add_f16_e32 v8, v10, v8
	v_fmac_f16_e32 v12, 0x38b4, v39
	v_fmac_f16_e32 v42, 0x34f2, v33
	v_sub_f16_e32 v15, v15, v9
	v_fmamk_f16 v36, v20, 0xbb9c, v7
	v_fmac_f16_e32 v7, 0x3b9c, v20
	v_fmac_f16_e32 v11, 0x38b4, v20
	;; [unrolled: 1-line block ×3, first 2 shown]
	v_add_f16_e32 v9, v22, v51
	v_fmac_f16_e32 v41, 0x38b4, v38
	v_add_f16_e32 v10, v31, v53
	v_fmac_f16_e32 v43, 0x34f2, v34
	v_fmac_f16_e32 v29, 0x38b4, v14
	;; [unrolled: 1-line block ×3, first 2 shown]
	v_fmamk_f16 v40, v28, 0x3b9c, v35
	v_fmac_f16_e32 v35, 0xbb9c, v28
	v_fmac_f16_e32 v32, 0x38b4, v54
	;; [unrolled: 1-line block ×4, first 2 shown]
	v_add_f16_e32 v14, v4, v8
	v_sub_f16_e32 v4, v4, v8
	v_mul_f16_e32 v8, 0x38b4, v42
	v_fmac_f16_e32 v36, 0x38b4, v19
	v_fmac_f16_e32 v7, 0xb8b4, v19
	;; [unrolled: 1-line block ×5, first 2 shown]
	v_add_f16_e32 v18, v9, v10
	v_sub_f16_e32 v19, v9, v10
	v_mul_f16_e32 v9, 0x3b9c, v43
	v_fmac_f16_e32 v29, 0x34f2, v34
	v_mul_f16_e32 v10, 0x34f2, v16
	v_fmamk_f16 v37, v15, 0xbb9c, v23
	v_fmac_f16_e32 v23, 0x3b9c, v15
	v_fmac_f16_e32 v40, 0xb8b4, v15
	;; [unrolled: 1-line block ×4, first 2 shown]
	v_mul_f16_e32 v15, 0x3a79, v26
	v_fmac_f16_e32 v8, 0x3a79, v12
	v_fmac_f16_e32 v36, 0x34f2, v21
	;; [unrolled: 1-line block ×4, first 2 shown]
	ds_write_b16 v17, v14
	ds_write_b16 v17, v4 offset:60
	v_fma_f16 v4, v29, 0x3b9c, -v10
	v_mul_f16_e32 v22, 0x34f2, v29
	v_fma_f16 v10, v32, 0x38b4, -v15
	v_mul_f16_e32 v20, 0xb8b4, v12
	v_add_f16_e32 v12, v11, v8
	v_add_f16_e32 v14, v36, v9
	;; [unrolled: 1-line block ×3, first 2 shown]
	v_fma_f16 v22, v16, 0xbb9c, -v22
	v_add_f16_e32 v16, v13, v10
	v_sub_f16_e32 v8, v11, v8
	v_sub_f16_e32 v9, v36, v9
	;; [unrolled: 1-line block ×4, first 2 shown]
	ds_write_b16 v17, v12 offset:12
	ds_write_b16 v17, v14 offset:24
	;; [unrolled: 1-line block ×8, first 2 shown]
	s_waitcnt lgkmcnt(0)
	s_barrier
	buffer_gl0_inv
	ds_read_u16 v7, v0
	ds_read_u16 v8, v6 offset:24
	ds_read_u16 v9, v6 offset:48
	;; [unrolled: 1-line block ×9, first 2 shown]
	v_fmac_f16_e32 v37, 0xb8b4, v28
	v_fmac_f16_e32 v23, 0x38b4, v28
	v_mul_f16_e32 v21, 0xbb9c, v41
	v_fmac_f16_e32 v20, 0x3a79, v42
	v_fmac_f16_e32 v40, 0x34f2, v25
	;; [unrolled: 1-line block ×4, first 2 shown]
	v_mul_f16_e32 v24, 0x3a79, v32
	v_fmac_f16_e32 v21, 0x34f2, v43
	v_fmac_f16_e32 v35, 0x34f2, v25
	v_add_f16_e32 v25, v37, v20
	v_sub_f16_e32 v20, v37, v20
	v_fma_f16 v24, v26, 0xb8b4, -v24
	v_add_f16_e32 v26, v40, v21
	v_add_f16_e32 v27, v35, v22
	v_sub_f16_e32 v4, v40, v21
	v_sub_f16_e32 v21, v35, v22
	v_add_f16_e32 v28, v23, v24
	v_sub_f16_e32 v22, v23, v24
	s_waitcnt lgkmcnt(0)
	s_barrier
	buffer_gl0_inv
	ds_write_b16 v17, v18
	ds_write_b16 v17, v25 offset:12
	ds_write_b16 v17, v26 offset:24
	;; [unrolled: 1-line block ×9, first 2 shown]
	s_waitcnt lgkmcnt(0)
	s_barrier
	buffer_gl0_inv
	s_and_saveexec_b32 s0, vcc_lo
	s_cbranch_execz .LBB0_18
; %bb.17:
	v_mov_b32_e32 v4, v5
	v_lshlrev_b64 v[17:18], 2, v[3:4]
	v_add_nc_u32_e32 v4, 24, v3
	v_mul_hi_u32 v4, 0x88888889, v4
	v_add_co_u32 v19, vcc_lo, s8, v17
	v_add_co_ci_u32_e32 v20, vcc_lo, s9, v18, vcc_lo
	v_add_co_u32 v34, vcc_lo, s2, v1
	s_clause 0x4
	global_load_dword v21, v[19:20], off offset:408
	global_load_dword v22, v[19:20], off offset:360
	;; [unrolled: 1-line block ×5, first 2 shown]
	v_add_nc_u32_e32 v19, 36, v3
	v_lshrrev_b32_e32 v4, 5, v4
	v_or_b32_e32 v3, 48, v3
	ds_read_u16 v26, v6 offset:216
	ds_read_u16 v27, v6 offset:192
	;; [unrolled: 1-line block ×6, first 2 shown]
	v_mul_hi_u32 v19, 0x88888889, v19
	v_mul_lo_u32 v4, v4, 60
	v_mul_hi_u32 v3, 0x88888889, v3
	v_add_co_ci_u32_e32 v35, vcc_lo, s3, v2, vcc_lo
	v_add_co_u32 v17, vcc_lo, v34, v17
	v_lshrrev_b32_e32 v29, 5, v19
	v_lshlrev_b64 v[19:20], 2, v[4:5]
	v_lshrrev_b32_e32 v3, 5, v3
	v_add_co_ci_u32_e32 v18, vcc_lo, v35, v18, vcc_lo
	v_mul_lo_u32 v4, v29, 60
	ds_read_u16 v29, v6 offset:96
	ds_read_u16 v33, v6 offset:72
	ds_read_u16 v6, v6 offset:24
	ds_read_u16 v34, v0
	v_add_co_u32 v19, vcc_lo, v17, v19
	v_add_co_ci_u32_e32 v20, vcc_lo, v18, v20, vcc_lo
	v_lshlrev_b64 v[1:2], 2, v[4:5]
	v_mul_lo_u32 v4, v3, 60
	v_add_co_u32 v0, vcc_lo, v17, v1
	v_add_co_ci_u32_e32 v1, vcc_lo, v18, v2, vcc_lo
	v_lshlrev_b64 v[3:4], 2, v[4:5]
	v_add_co_u32 v2, vcc_lo, v17, v3
	v_add_co_ci_u32_e32 v3, vcc_lo, v18, v4, vcc_lo
	s_waitcnt vmcnt(4) lgkmcnt(9)
	v_mul_f16_sdwa v4, v26, v21 dst_sel:DWORD dst_unused:UNUSED_PAD src0_sel:DWORD src1_sel:WORD_1
	s_waitcnt vmcnt(3) lgkmcnt(8)
	v_mul_f16_sdwa v35, v27, v22 dst_sel:DWORD dst_unused:UNUSED_PAD src0_sel:DWORD src1_sel:WORD_1
	s_waitcnt vmcnt(2) lgkmcnt(6)
	v_mul_f16_sdwa v37, v30, v23 dst_sel:DWORD dst_unused:UNUSED_PAD src0_sel:DWORD src1_sel:WORD_1
	s_waitcnt vmcnt(1) lgkmcnt(5)
	v_mul_f16_sdwa v39, v31, v24 dst_sel:DWORD dst_unused:UNUSED_PAD src0_sel:DWORD src1_sel:WORD_1
	s_waitcnt vmcnt(0) lgkmcnt(4)
	v_mul_f16_sdwa v41, v32, v25 dst_sel:DWORD dst_unused:UNUSED_PAD src0_sel:DWORD src1_sel:WORD_1
	v_mul_f16_sdwa v42, v12, v25 dst_sel:DWORD dst_unused:UNUSED_PAD src0_sel:DWORD src1_sel:WORD_1
	v_mul_f16_sdwa v40, v13, v24 dst_sel:DWORD dst_unused:UNUSED_PAD src0_sel:DWORD src1_sel:WORD_1
	;; [unrolled: 1-line block ×5, first 2 shown]
	v_fma_f16 v12, v12, v25, -v41
	v_fmac_f16_e32 v42, v25, v32
	v_fma_f16 v13, v13, v24, -v39
	v_fmac_f16_e32 v40, v24, v31
	v_fma_f16 v14, v14, v23, -v37
	v_fmac_f16_e32 v38, v23, v30
	v_fma_f16 v15, v15, v22, -v35
	v_fmac_f16_e32 v36, v22, v27
	v_fma_f16 v4, v16, v21, -v4
	v_fmac_f16_e32 v5, v21, v26
	v_sub_f16_e32 v12, v7, v12
	s_waitcnt lgkmcnt(0)
	v_sub_f16_e32 v23, v34, v42
	v_sub_f16_e32 v13, v8, v13
	;; [unrolled: 1-line block ×9, first 2 shown]
	v_fma_f16 v7, v7, 2.0, -v12
	v_fma_f16 v27, v34, 2.0, -v23
	;; [unrolled: 1-line block ×10, first 2 shown]
	v_pack_b32_f16 v12, v12, v23
	v_pack_b32_f16 v13, v13, v22
	;; [unrolled: 1-line block ×10, first 2 shown]
	global_store_dword v[17:18], v12, off offset:240
	global_store_dword v[17:18], v13, off offset:288
	;; [unrolled: 1-line block ×4, first 2 shown]
	global_store_dword v[17:18], v5, off
	global_store_dword v[17:18], v6, off offset:48
	global_store_dword v[19:20], v7, off offset:96
	;; [unrolled: 1-line block ×5, first 2 shown]
.LBB0_18:
	s_endpgm
	.section	.rodata,"a",@progbits
	.p2align	6, 0x0
	.amdhsa_kernel fft_rtc_fwd_len120_factors_6_10_2_wgs_60_tpt_12_halfLds_half_ip_CI_unitstride_sbrr_dirReg
		.amdhsa_group_segment_fixed_size 0
		.amdhsa_private_segment_fixed_size 0
		.amdhsa_kernarg_size 88
		.amdhsa_user_sgpr_count 6
		.amdhsa_user_sgpr_private_segment_buffer 1
		.amdhsa_user_sgpr_dispatch_ptr 0
		.amdhsa_user_sgpr_queue_ptr 0
		.amdhsa_user_sgpr_kernarg_segment_ptr 1
		.amdhsa_user_sgpr_dispatch_id 0
		.amdhsa_user_sgpr_flat_scratch_init 0
		.amdhsa_user_sgpr_private_segment_size 0
		.amdhsa_wavefront_size32 1
		.amdhsa_uses_dynamic_stack 0
		.amdhsa_system_sgpr_private_segment_wavefront_offset 0
		.amdhsa_system_sgpr_workgroup_id_x 1
		.amdhsa_system_sgpr_workgroup_id_y 0
		.amdhsa_system_sgpr_workgroup_id_z 0
		.amdhsa_system_sgpr_workgroup_info 0
		.amdhsa_system_vgpr_workitem_id 0
		.amdhsa_next_free_vgpr 59
		.amdhsa_next_free_sgpr 21
		.amdhsa_reserve_vcc 1
		.amdhsa_reserve_flat_scratch 0
		.amdhsa_float_round_mode_32 0
		.amdhsa_float_round_mode_16_64 0
		.amdhsa_float_denorm_mode_32 3
		.amdhsa_float_denorm_mode_16_64 3
		.amdhsa_dx10_clamp 1
		.amdhsa_ieee_mode 1
		.amdhsa_fp16_overflow 0
		.amdhsa_workgroup_processor_mode 1
		.amdhsa_memory_ordered 1
		.amdhsa_forward_progress 0
		.amdhsa_shared_vgpr_count 0
		.amdhsa_exception_fp_ieee_invalid_op 0
		.amdhsa_exception_fp_denorm_src 0
		.amdhsa_exception_fp_ieee_div_zero 0
		.amdhsa_exception_fp_ieee_overflow 0
		.amdhsa_exception_fp_ieee_underflow 0
		.amdhsa_exception_fp_ieee_inexact 0
		.amdhsa_exception_int_div_zero 0
	.end_amdhsa_kernel
	.text
.Lfunc_end0:
	.size	fft_rtc_fwd_len120_factors_6_10_2_wgs_60_tpt_12_halfLds_half_ip_CI_unitstride_sbrr_dirReg, .Lfunc_end0-fft_rtc_fwd_len120_factors_6_10_2_wgs_60_tpt_12_halfLds_half_ip_CI_unitstride_sbrr_dirReg
                                        ; -- End function
	.section	.AMDGPU.csdata,"",@progbits
; Kernel info:
; codeLenInByte = 4748
; NumSgprs: 23
; NumVgprs: 59
; ScratchSize: 0
; MemoryBound: 0
; FloatMode: 240
; IeeeMode: 1
; LDSByteSize: 0 bytes/workgroup (compile time only)
; SGPRBlocks: 2
; VGPRBlocks: 7
; NumSGPRsForWavesPerEU: 23
; NumVGPRsForWavesPerEU: 59
; Occupancy: 16
; WaveLimiterHint : 1
; COMPUTE_PGM_RSRC2:SCRATCH_EN: 0
; COMPUTE_PGM_RSRC2:USER_SGPR: 6
; COMPUTE_PGM_RSRC2:TRAP_HANDLER: 0
; COMPUTE_PGM_RSRC2:TGID_X_EN: 1
; COMPUTE_PGM_RSRC2:TGID_Y_EN: 0
; COMPUTE_PGM_RSRC2:TGID_Z_EN: 0
; COMPUTE_PGM_RSRC2:TIDIG_COMP_CNT: 0
	.text
	.p2alignl 6, 3214868480
	.fill 48, 4, 3214868480
	.type	__hip_cuid_534c4d6a18f94cc0,@object ; @__hip_cuid_534c4d6a18f94cc0
	.section	.bss,"aw",@nobits
	.globl	__hip_cuid_534c4d6a18f94cc0
__hip_cuid_534c4d6a18f94cc0:
	.byte	0                               ; 0x0
	.size	__hip_cuid_534c4d6a18f94cc0, 1

	.ident	"AMD clang version 19.0.0git (https://github.com/RadeonOpenCompute/llvm-project roc-6.4.0 25133 c7fe45cf4b819c5991fe208aaa96edf142730f1d)"
	.section	".note.GNU-stack","",@progbits
	.addrsig
	.addrsig_sym __hip_cuid_534c4d6a18f94cc0
	.amdgpu_metadata
---
amdhsa.kernels:
  - .args:
      - .actual_access:  read_only
        .address_space:  global
        .offset:         0
        .size:           8
        .value_kind:     global_buffer
      - .offset:         8
        .size:           8
        .value_kind:     by_value
      - .actual_access:  read_only
        .address_space:  global
        .offset:         16
        .size:           8
        .value_kind:     global_buffer
      - .actual_access:  read_only
        .address_space:  global
        .offset:         24
        .size:           8
        .value_kind:     global_buffer
      - .offset:         32
        .size:           8
        .value_kind:     by_value
      - .actual_access:  read_only
        .address_space:  global
        .offset:         40
        .size:           8
        .value_kind:     global_buffer
      - .actual_access:  read_only
        .address_space:  global
        .offset:         48
        .size:           8
        .value_kind:     global_buffer
      - .offset:         56
        .size:           4
        .value_kind:     by_value
      - .actual_access:  read_only
        .address_space:  global
        .offset:         64
        .size:           8
        .value_kind:     global_buffer
      - .actual_access:  read_only
        .address_space:  global
        .offset:         72
        .size:           8
        .value_kind:     global_buffer
      - .address_space:  global
        .offset:         80
        .size:           8
        .value_kind:     global_buffer
    .group_segment_fixed_size: 0
    .kernarg_segment_align: 8
    .kernarg_segment_size: 88
    .language:       OpenCL C
    .language_version:
      - 2
      - 0
    .max_flat_workgroup_size: 60
    .name:           fft_rtc_fwd_len120_factors_6_10_2_wgs_60_tpt_12_halfLds_half_ip_CI_unitstride_sbrr_dirReg
    .private_segment_fixed_size: 0
    .sgpr_count:     23
    .sgpr_spill_count: 0
    .symbol:         fft_rtc_fwd_len120_factors_6_10_2_wgs_60_tpt_12_halfLds_half_ip_CI_unitstride_sbrr_dirReg.kd
    .uniform_work_group_size: 1
    .uses_dynamic_stack: false
    .vgpr_count:     59
    .vgpr_spill_count: 0
    .wavefront_size: 32
    .workgroup_processor_mode: 1
amdhsa.target:   amdgcn-amd-amdhsa--gfx1030
amdhsa.version:
  - 1
  - 2
...

	.end_amdgpu_metadata
